;; amdgpu-corpus repo=ROCm/rocFFT kind=compiled arch=gfx906 opt=O3
	.text
	.amdgcn_target "amdgcn-amd-amdhsa--gfx906"
	.amdhsa_code_object_version 6
	.protected	fft_rtc_fwd_len100_factors_10_10_wgs_100_tpt_10_sp_op_CI_CI_sbcr ; -- Begin function fft_rtc_fwd_len100_factors_10_10_wgs_100_tpt_10_sp_op_CI_CI_sbcr
	.globl	fft_rtc_fwd_len100_factors_10_10_wgs_100_tpt_10_sp_op_CI_CI_sbcr
	.p2align	8
	.type	fft_rtc_fwd_len100_factors_10_10_wgs_100_tpt_10_sp_op_CI_CI_sbcr,@function
fft_rtc_fwd_len100_factors_10_10_wgs_100_tpt_10_sp_op_CI_CI_sbcr: ; @fft_rtc_fwd_len100_factors_10_10_wgs_100_tpt_10_sp_op_CI_CI_sbcr
; %bb.0:
	s_load_dwordx4 s[24:27], s[4:5], 0x10
	s_load_dwordx2 s[2:3], s[4:5], 0x20
	s_mov_b32 s7, 0
	s_mov_b64 s[30:31], 0
	s_waitcnt lgkmcnt(0)
	s_load_dwordx2 s[28:29], s[24:25], 0x8
	s_waitcnt lgkmcnt(0)
	s_add_u32 s0, s28, -1
	s_addc_u32 s1, s29, -1
	s_add_u32 s8, 0, 0x99986000
	s_addc_u32 s9, 0, 0x59
	s_mul_hi_u32 s11, s8, -10
	s_add_i32 s9, s9, 0x19999940
	s_sub_i32 s11, s11, s8
	s_mul_i32 s14, s9, -10
	s_mul_i32 s10, s8, -10
	s_add_i32 s11, s11, s14
	s_mul_hi_u32 s12, s9, s10
	s_mul_i32 s13, s9, s10
	s_mul_i32 s15, s8, s11
	s_mul_hi_u32 s10, s8, s10
	s_mul_hi_u32 s14, s8, s11
	s_add_u32 s10, s10, s15
	s_addc_u32 s14, 0, s14
	s_add_u32 s10, s10, s13
	s_mul_hi_u32 s15, s9, s11
	s_addc_u32 s10, s14, s12
	s_addc_u32 s12, s15, 0
	s_mul_i32 s11, s9, s11
	s_add_u32 s10, s10, s11
	v_mov_b32_e32 v1, s10
	s_addc_u32 s11, 0, s12
	v_add_co_u32_e32 v1, vcc, s8, v1
	s_cmp_lg_u64 vcc, 0
	s_addc_u32 s8, s9, s11
	v_readfirstlane_b32 s11, v1
	s_mul_i32 s10, s0, s8
	s_mul_hi_u32 s12, s0, s11
	s_mul_hi_u32 s9, s0, s8
	s_add_u32 s10, s12, s10
	s_addc_u32 s9, 0, s9
	s_mul_hi_u32 s13, s1, s11
	s_mul_i32 s11, s1, s11
	s_add_u32 s10, s10, s11
	s_mul_hi_u32 s12, s1, s8
	s_addc_u32 s9, s9, s13
	s_addc_u32 s10, s12, 0
	s_mul_i32 s8, s1, s8
	s_add_u32 s8, s9, s8
	s_addc_u32 s9, 0, s10
	s_add_u32 s10, s8, 1
	s_addc_u32 s11, s9, 0
	s_add_u32 s12, s8, 2
	s_mul_i32 s14, s9, 10
	s_mul_hi_u32 s15, s8, 10
	s_addc_u32 s13, s9, 0
	s_add_i32 s15, s15, s14
	s_mul_i32 s14, s8, 10
	v_mov_b32_e32 v1, s14
	v_sub_co_u32_e32 v1, vcc, s0, v1
	s_cmp_lg_u64 vcc, 0
	s_subb_u32 s0, s1, s15
	v_subrev_co_u32_e32 v2, vcc, 10, v1
	s_cmp_lg_u64 vcc, 0
	s_subb_u32 s1, s0, 0
	v_readfirstlane_b32 s14, v2
	s_cmp_gt_u32 s14, 9
	s_cselect_b32 s14, -1, 0
	s_cmp_eq_u32 s1, 0
	s_cselect_b32 s1, s14, -1
	s_cmp_lg_u32 s1, 0
	s_cselect_b32 s1, s12, s10
	s_cselect_b32 s10, s13, s11
	v_readfirstlane_b32 s11, v1
	s_cmp_gt_u32 s11, 9
	s_cselect_b32 s11, -1, 0
	s_cmp_eq_u32 s0, 0
	s_cselect_b32 s0, s11, -1
	s_cmp_lg_u32 s0, 0
	s_cselect_b32 s1, s1, s8
	s_cselect_b32 s0, s10, s9
	s_add_u32 s34, s1, 1
	s_addc_u32 s35, s0, 0
	v_mov_b32_e32 v1, s34
	v_mov_b32_e32 v2, s35
	v_cmp_lt_u64_e32 vcc, s[6:7], v[1:2]
	s_cbranch_vccnz .LBB0_2
; %bb.1:
	v_cvt_f32_u32_e32 v1, s34
	s_sub_i32 s0, 0, s34
	s_mov_b32 s31, s7
	v_rcp_iflag_f32_e32 v1, v1
	v_mul_f32_e32 v1, 0x4f7ffffe, v1
	v_cvt_u32_f32_e32 v1, v1
	v_readfirstlane_b32 s1, v1
	s_mul_i32 s0, s0, s1
	s_mul_hi_u32 s0, s1, s0
	s_add_i32 s1, s1, s0
	s_mul_hi_u32 s0, s6, s1
	s_mul_i32 s8, s0, s34
	s_sub_i32 s8, s6, s8
	s_add_i32 s1, s0, 1
	s_sub_i32 s9, s8, s34
	s_cmp_ge_u32 s8, s34
	s_cselect_b32 s0, s1, s0
	s_cselect_b32 s8, s9, s8
	s_add_i32 s1, s0, 1
	s_cmp_ge_u32 s8, s34
	s_cselect_b32 s30, s1, s0
.LBB0_2:
	s_mul_i32 s0, s30, s35
	s_mul_hi_u32 s1, s30, s34
	s_add_i32 s1, s1, s0
	s_mul_i32 s0, s30, s34
	s_load_dwordx4 s[12:15], s[4:5], 0x58
	s_load_dwordx4 s[16:19], s[4:5], 0x0
	;; [unrolled: 1-line block ×4, first 2 shown]
	s_sub_u32 s48, s6, s0
	s_subb_u32 s0, 0, s1
	s_mul_i32 s0, s0, 10
	s_mul_hi_u32 s33, s48, 10
	s_add_i32 s33, s33, s0
	s_mul_i32 s48, s48, 10
	s_waitcnt lgkmcnt(0)
	s_mul_i32 s0, s22, s33
	s_mul_hi_u32 s1, s22, s48
	s_add_i32 s0, s1, s0
	s_mul_i32 s1, s23, s48
	s_add_i32 s5, s0, s1
	s_mul_i32 s0, s10, s33
	s_mul_hi_u32 s1, s10, s48
	s_add_i32 s0, s1, s0
	s_mul_i32 s1, s11, s48
	s_add_i32 s49, s0, s1
	v_cmp_lt_u64_e64 s[0:1], s[18:19], 3
	s_mul_i32 s4, s22, s48
	s_mul_i32 s50, s10, s48
	s_and_b64 vcc, exec, s[0:1]
	s_cbranch_vccnz .LBB0_12
; %bb.3:
	s_add_u32 s36, s2, 16
	s_addc_u32 s37, s3, 0
	s_add_u32 s38, s26, 16
	s_addc_u32 s39, s27, 0
	s_add_u32 s24, s24, 16
	v_mov_b32_e32 v1, s18
	s_addc_u32 s25, s25, 0
	s_mov_b64 s[40:41], 2
	s_mov_b32 s42, 0
	v_mov_b32_e32 v2, s19
.LBB0_4:                                ; =>This Inner Loop Header: Depth=1
	s_load_dwordx2 s[44:45], s[24:25], 0x0
	s_waitcnt lgkmcnt(0)
	s_or_b64 s[0:1], s[30:31], s[44:45]
	s_mov_b32 s43, s1
	s_cmp_lg_u64 s[42:43], 0
	s_cbranch_scc0 .LBB0_9
; %bb.5:                                ;   in Loop: Header=BB0_4 Depth=1
	v_cvt_f32_u32_e32 v3, s44
	v_cvt_f32_u32_e32 v4, s45
	s_sub_u32 s0, 0, s44
	s_subb_u32 s1, 0, s45
	v_mac_f32_e32 v3, 0x4f800000, v4
	v_rcp_f32_e32 v3, v3
	v_mul_f32_e32 v3, 0x5f7ffffc, v3
	v_mul_f32_e32 v4, 0x2f800000, v3
	v_trunc_f32_e32 v4, v4
	v_mac_f32_e32 v3, 0xcf800000, v4
	v_cvt_u32_f32_e32 v4, v4
	v_cvt_u32_f32_e32 v3, v3
	v_readfirstlane_b32 s43, v4
	v_readfirstlane_b32 s46, v3
	s_mul_i32 s47, s0, s43
	s_mul_hi_u32 s52, s0, s46
	s_mul_i32 s51, s1, s46
	s_add_i32 s47, s52, s47
	s_mul_i32 s53, s0, s46
	s_add_i32 s47, s47, s51
	s_mul_hi_u32 s51, s46, s47
	s_mul_i32 s52, s46, s47
	s_mul_hi_u32 s46, s46, s53
	s_add_u32 s46, s46, s52
	s_addc_u32 s51, 0, s51
	s_mul_hi_u32 s54, s43, s53
	s_mul_i32 s53, s43, s53
	s_add_u32 s46, s46, s53
	s_mul_hi_u32 s52, s43, s47
	s_addc_u32 s46, s51, s54
	s_addc_u32 s51, s52, 0
	s_mul_i32 s47, s43, s47
	s_add_u32 s46, s46, s47
	s_addc_u32 s47, 0, s51
	v_add_co_u32_e32 v3, vcc, s46, v3
	s_cmp_lg_u64 vcc, 0
	s_addc_u32 s43, s43, s47
	v_readfirstlane_b32 s47, v3
	s_mul_i32 s46, s0, s43
	s_mul_hi_u32 s51, s0, s47
	s_add_i32 s46, s51, s46
	s_mul_i32 s1, s1, s47
	s_add_i32 s46, s46, s1
	s_mul_i32 s0, s0, s47
	s_mul_hi_u32 s51, s43, s0
	s_mul_i32 s52, s43, s0
	s_mul_i32 s54, s47, s46
	s_mul_hi_u32 s0, s47, s0
	s_mul_hi_u32 s53, s47, s46
	s_add_u32 s0, s0, s54
	s_addc_u32 s47, 0, s53
	s_add_u32 s0, s0, s52
	s_mul_hi_u32 s1, s43, s46
	s_addc_u32 s0, s47, s51
	s_addc_u32 s1, s1, 0
	s_mul_i32 s46, s43, s46
	s_add_u32 s0, s0, s46
	s_addc_u32 s1, 0, s1
	v_add_co_u32_e32 v3, vcc, s0, v3
	s_cmp_lg_u64 vcc, 0
	s_addc_u32 s0, s43, s1
	v_readfirstlane_b32 s46, v3
	s_mul_i32 s43, s30, s0
	s_mul_hi_u32 s47, s30, s46
	s_mul_hi_u32 s1, s30, s0
	s_add_u32 s43, s47, s43
	s_addc_u32 s1, 0, s1
	s_mul_hi_u32 s51, s31, s46
	s_mul_i32 s46, s31, s46
	s_add_u32 s43, s43, s46
	s_mul_hi_u32 s47, s31, s0
	s_addc_u32 s1, s1, s51
	s_addc_u32 s43, s47, 0
	s_mul_i32 s0, s31, s0
	s_add_u32 s46, s1, s0
	s_addc_u32 s43, 0, s43
	s_mul_i32 s0, s44, s43
	s_mul_hi_u32 s1, s44, s46
	s_add_i32 s0, s1, s0
	s_mul_i32 s1, s45, s46
	s_add_i32 s47, s0, s1
	s_mul_i32 s1, s44, s46
	v_mov_b32_e32 v3, s1
	s_sub_i32 s0, s31, s47
	v_sub_co_u32_e32 v3, vcc, s30, v3
	s_cmp_lg_u64 vcc, 0
	s_subb_u32 s51, s0, s45
	v_subrev_co_u32_e64 v4, s[0:1], s44, v3
	s_cmp_lg_u64 s[0:1], 0
	s_subb_u32 s0, s51, 0
	s_cmp_ge_u32 s0, s45
	v_readfirstlane_b32 s51, v4
	s_cselect_b32 s1, -1, 0
	s_cmp_ge_u32 s51, s44
	s_cselect_b32 s51, -1, 0
	s_cmp_eq_u32 s0, s45
	s_cselect_b32 s0, s51, s1
	s_add_u32 s1, s46, 1
	s_addc_u32 s51, s43, 0
	s_add_u32 s52, s46, 2
	s_addc_u32 s53, s43, 0
	s_cmp_lg_u32 s0, 0
	s_cselect_b32 s0, s52, s1
	s_cselect_b32 s1, s53, s51
	s_cmp_lg_u64 vcc, 0
	s_subb_u32 s47, s31, s47
	s_cmp_ge_u32 s47, s45
	v_readfirstlane_b32 s52, v3
	s_cselect_b32 s51, -1, 0
	s_cmp_ge_u32 s52, s44
	s_cselect_b32 s52, -1, 0
	s_cmp_eq_u32 s47, s45
	s_cselect_b32 s47, s52, s51
	s_cmp_lg_u32 s47, 0
	s_cselect_b32 s1, s1, s43
	s_cselect_b32 s0, s0, s46
	s_cbranch_execnz .LBB0_7
.LBB0_6:                                ;   in Loop: Header=BB0_4 Depth=1
	v_cvt_f32_u32_e32 v3, s44
	s_sub_i32 s0, 0, s44
	v_rcp_iflag_f32_e32 v3, v3
	v_mul_f32_e32 v3, 0x4f7ffffe, v3
	v_cvt_u32_f32_e32 v3, v3
	v_readfirstlane_b32 s1, v3
	s_mul_i32 s0, s0, s1
	s_mul_hi_u32 s0, s1, s0
	s_add_i32 s1, s1, s0
	s_mul_hi_u32 s0, s30, s1
	s_mul_i32 s43, s0, s44
	s_sub_i32 s43, s30, s43
	s_add_i32 s1, s0, 1
	s_sub_i32 s46, s43, s44
	s_cmp_ge_u32 s43, s44
	s_cselect_b32 s0, s1, s0
	s_cselect_b32 s43, s46, s43
	s_add_i32 s1, s0, 1
	s_cmp_ge_u32 s43, s44
	s_cselect_b32 s0, s1, s0
	s_mov_b32 s1, s42
.LBB0_7:                                ;   in Loop: Header=BB0_4 Depth=1
	s_mul_i32 s35, s44, s35
	s_mul_hi_u32 s43, s44, s34
	s_add_i32 s35, s43, s35
	s_mul_i32 s43, s45, s34
	s_add_i32 s35, s35, s43
	s_mul_i32 s43, s0, s45
	s_mul_hi_u32 s45, s0, s44
	s_load_dwordx2 s[46:47], s[38:39], 0x0
	s_add_i32 s43, s45, s43
	s_mul_i32 s45, s1, s44
	s_mul_i32 s34, s44, s34
	s_add_i32 s43, s43, s45
	s_mul_i32 s44, s0, s44
	s_sub_u32 s44, s30, s44
	s_subb_u32 s43, s31, s43
	s_waitcnt lgkmcnt(0)
	s_mul_i32 s30, s46, s43
	s_mul_hi_u32 s31, s46, s44
	s_add_i32 s45, s31, s30
	s_load_dwordx2 s[30:31], s[36:37], 0x0
	s_mul_i32 s47, s47, s44
	s_add_i32 s45, s45, s47
	s_mul_i32 s46, s46, s44
	s_add_u32 s4, s46, s4
	s_addc_u32 s5, s45, s5
	s_waitcnt lgkmcnt(0)
	s_mul_i32 s43, s30, s43
	s_mul_hi_u32 s45, s30, s44
	s_add_i32 s43, s45, s43
	s_mul_i32 s31, s31, s44
	s_add_i32 s43, s43, s31
	s_mul_i32 s30, s30, s44
	s_add_u32 s50, s30, s50
	s_addc_u32 s49, s43, s49
	s_add_u32 s40, s40, 1
	s_addc_u32 s41, s41, 0
	;; [unrolled: 2-line block ×4, first 2 shown]
	v_cmp_ge_u64_e32 vcc, s[40:41], v[1:2]
	s_add_u32 s24, s24, 8
	s_addc_u32 s25, s25, 0
	s_cbranch_vccnz .LBB0_10
; %bb.8:                                ;   in Loop: Header=BB0_4 Depth=1
	s_mov_b64 s[30:31], s[0:1]
	s_branch .LBB0_4
.LBB0_9:                                ;   in Loop: Header=BB0_4 Depth=1
                                        ; implicit-def: $sgpr0_sgpr1
	s_branch .LBB0_6
.LBB0_10:
	v_mov_b32_e32 v1, s34
	v_mov_b32_e32 v2, s35
	v_cmp_lt_u64_e32 vcc, s[6:7], v[1:2]
	s_mov_b64 s[30:31], 0
	s_cbranch_vccnz .LBB0_12
; %bb.11:
	v_cvt_f32_u32_e32 v1, s34
	s_sub_i32 s0, 0, s34
	v_rcp_iflag_f32_e32 v1, v1
	v_mul_f32_e32 v1, 0x4f7ffffe, v1
	v_cvt_u32_f32_e32 v1, v1
	v_readfirstlane_b32 s1, v1
	s_mul_i32 s0, s0, s1
	s_mul_hi_u32 s0, s1, s0
	s_add_i32 s1, s1, s0
	s_mul_hi_u32 s0, s6, s1
	s_mul_i32 s7, s0, s34
	s_sub_i32 s6, s6, s7
	s_add_i32 s1, s0, 1
	s_sub_i32 s7, s6, s34
	s_cmp_ge_u32 s6, s34
	s_cselect_b32 s0, s1, s0
	s_cselect_b32 s6, s7, s6
	s_add_i32 s1, s0, 1
	s_cmp_ge_u32 s6, s34
	s_cselect_b32 s30, s1, s0
.LBB0_12:
	v_mul_u32_u24_e32 v1, 0x199a, v0
	s_lshl_b64 s[18:19], s[18:19], 3
	v_lshrrev_b32_e32 v1, 16, v1
	s_add_u32 s0, s2, s18
	v_mul_lo_u16_e32 v2, 10, v1
	s_addc_u32 s1, s3, s19
	v_sub_u16_e32 v2, v0, v2
	s_load_dwordx2 s[6:7], s[0:1], 0x0
	s_add_u32 s24, s48, 10
	v_mov_b32_e32 v3, s28
	v_mov_b32_e32 v6, s33
	v_add_co_u32_e64 v5, s[0:1], s48, v2
	s_addc_u32 s25, s33, 0
	v_mov_b32_e32 v4, s29
	v_addc_co_u32_e64 v6, s[0:1], 0, v6, s[0:1]
	v_cmp_le_u64_e32 vcc, s[24:25], v[3:4]
	v_cmp_gt_u64_e64 s[2:3], s[28:29], v[5:6]
	v_cmp_gt_u64_e64 s[0:1], s[24:25], v[3:4]
	s_or_b64 s[24:25], vcc, s[2:3]
	s_and_saveexec_b64 s[2:3], s[24:25]
	s_cbranch_execz .LBB0_14
; %bb.13:
	s_add_u32 s18, s26, s18
	s_addc_u32 s19, s27, s19
	s_load_dwordx2 s[18:19], s[18:19], 0x0
	v_mad_u64_u32 v[3:4], s[24:25], s22, v2, 0
	v_mad_u64_u32 v[5:6], s[24:25], s20, v1, 0
	s_waitcnt lgkmcnt(0)
	s_mul_i32 s19, s19, s30
	s_mul_hi_u32 s26, s18, s30
	s_add_i32 s19, s26, s19
	s_mul_i32 s18, s18, s30
	v_mad_u64_u32 v[7:8], s[22:23], s23, v2, v[4:5]
	v_mov_b32_e32 v4, v6
	s_lshl_b64 s[18:19], s[18:19], 3
	v_mad_u64_u32 v[8:9], s[22:23], s21, v1, v[4:5]
	s_add_u32 s12, s12, s18
	s_addc_u32 s13, s13, s19
	s_lshl_b64 s[4:5], s[4:5], 3
	s_add_u32 s12, s12, s4
	s_addc_u32 s4, s13, s5
	v_add_u32_e32 v10, 10, v1
	v_mov_b32_e32 v4, v7
	v_mov_b32_e32 v6, v8
	;; [unrolled: 1-line block ×3, first 2 shown]
	v_mad_u64_u32 v[7:8], s[4:5], s20, v10, 0
	v_lshlrev_b64 v[3:4], 3, v[3:4]
	v_add_u32_e32 v11, 20, v1
	v_add_co_u32_e32 v33, vcc, s12, v3
	v_addc_co_u32_e32 v34, vcc, v9, v4, vcc
	v_lshlrev_b64 v[3:4], 3, v[5:6]
	v_mov_b32_e32 v5, v8
	v_mad_u64_u32 v[5:6], s[4:5], s21, v10, v[5:6]
	v_mad_u64_u32 v[9:10], s[4:5], s20, v11, 0
	v_mov_b32_e32 v8, v5
	v_lshlrev_b64 v[5:6], 3, v[7:8]
	v_mov_b32_e32 v7, v10
	v_mad_u64_u32 v[7:8], s[4:5], s21, v11, v[7:8]
	v_add_u32_e32 v13, 30, v1
	v_mad_u64_u32 v[11:12], s[4:5], s20, v13, 0
	v_mov_b32_e32 v10, v7
	v_lshlrev_b64 v[7:8], 3, v[9:10]
	v_mov_b32_e32 v9, v12
	v_mad_u64_u32 v[9:10], s[4:5], s21, v13, v[9:10]
	v_add_u32_e32 v13, 40, v1
	v_add_co_u32_e32 v3, vcc, v33, v3
	v_mov_b32_e32 v12, v9
	v_lshlrev_b64 v[9:10], 3, v[11:12]
	v_mad_u64_u32 v[11:12], s[4:5], s20, v13, 0
	v_addc_co_u32_e32 v4, vcc, v34, v4, vcc
	v_add_co_u32_e32 v5, vcc, v33, v5
	v_mad_u64_u32 v[12:13], s[4:5], s21, v13, v[12:13]
	v_add_u32_e32 v23, 50, v1
	v_addc_co_u32_e32 v6, vcc, v34, v6, vcc
	v_mad_u64_u32 v[13:14], s[4:5], s20, v23, 0
	v_add_co_u32_e32 v7, vcc, v33, v7
	v_addc_co_u32_e32 v8, vcc, v34, v8, vcc
	v_add_co_u32_e32 v9, vcc, v33, v9
	v_addc_co_u32_e32 v10, vcc, v34, v10, vcc
	global_load_dwordx2 v[15:16], v[3:4], off
	global_load_dwordx2 v[17:18], v[5:6], off
	;; [unrolled: 1-line block ×4, first 2 shown]
	v_mov_b32_e32 v5, v14
	v_mad_u64_u32 v[5:6], s[4:5], s21, v23, v[5:6]
	v_add_u32_e32 v10, 60, v1
	v_mad_u64_u32 v[6:7], s[4:5], s20, v10, 0
	v_mov_b32_e32 v14, v5
	v_lshlrev_b64 v[3:4], 3, v[11:12]
	v_mov_b32_e32 v5, v7
	v_lshlrev_b64 v[8:9], 3, v[13:14]
	v_mad_u64_u32 v[10:11], s[4:5], s21, v10, v[5:6]
	v_add_u32_e32 v13, 0x46, v1
	v_mad_u64_u32 v[11:12], s[4:5], s20, v13, 0
	v_add_co_u32_e32 v3, vcc, v33, v3
	v_addc_co_u32_e32 v4, vcc, v34, v4, vcc
	v_mov_b32_e32 v7, v10
	v_add_co_u32_e32 v8, vcc, v33, v8
	v_lshlrev_b64 v[5:6], 3, v[6:7]
	v_mov_b32_e32 v7, v12
	v_mad_u64_u32 v[12:13], s[4:5], s21, v13, v[7:8]
	v_or_b32_e32 v14, 0x50, v1
	v_addc_co_u32_e32 v9, vcc, v34, v9, vcc
	v_lshlrev_b64 v[10:11], 3, v[11:12]
	v_mad_u64_u32 v[12:13], s[4:5], s20, v14, 0
	v_add_co_u32_e32 v5, vcc, v33, v5
	v_mov_b32_e32 v7, v13
	v_mad_u64_u32 v[13:14], s[4:5], s21, v14, v[7:8]
	v_add_u32_e32 v7, 0x5a, v1
	v_mad_u64_u32 v[23:24], s[4:5], s20, v7, 0
	v_addc_co_u32_e32 v6, vcc, v34, v6, vcc
	v_add_co_u32_e32 v10, vcc, v33, v10
	v_addc_co_u32_e32 v11, vcc, v34, v11, vcc
	global_load_dwordx2 v[25:26], v[3:4], off
	global_load_dwordx2 v[27:28], v[8:9], off
	;; [unrolled: 1-line block ×4, first 2 shown]
	v_mov_b32_e32 v5, v24
	v_mad_u64_u32 v[5:6], s[4:5], s21, v7, v[5:6]
	v_lshlrev_b64 v[3:4], 3, v[12:13]
	v_mov_b32_e32 v24, v5
	v_add_co_u32_e32 v3, vcc, v33, v3
	v_lshlrev_b64 v[5:6], 3, v[23:24]
	v_addc_co_u32_e32 v4, vcc, v34, v4, vcc
	v_add_co_u32_e32 v5, vcc, v33, v5
	v_addc_co_u32_e32 v6, vcc, v34, v6, vcc
	global_load_dwordx2 v[7:8], v[3:4], off
	global_load_dwordx2 v[9:10], v[5:6], off
	v_mul_u32_u24_e32 v3, 0x320, v2
	v_lshlrev_b32_e32 v4, 3, v1
	v_add3_u32 v3, 0, v3, v4
	s_waitcnt vmcnt(8)
	ds_write2_b64 v3, v[15:16], v[17:18] offset1:10
	s_waitcnt vmcnt(6)
	ds_write2_b64 v3, v[19:20], v[21:22] offset0:20 offset1:30
	s_waitcnt vmcnt(4)
	ds_write2_b64 v3, v[25:26], v[27:28] offset0:40 offset1:50
	;; [unrolled: 2-line block ×4, first 2 shown]
.LBB0_14:
	s_or_b64 exec, exec, s[2:3]
	s_waitcnt lgkmcnt(0)
	s_mul_i32 s2, s7, s30
	s_mul_hi_u32 s3, s6, s30
	s_add_i32 s3, s3, s2
	s_mul_i32 s2, s6, s30
	s_add_u32 s2, s2, s50
	s_addc_u32 s3, s3, s49
	s_add_u32 s4, 0, 0x99986000
	s_addc_u32 s5, 0, 0x59
	s_add_i32 s5, s5, 0x19999940
	s_mul_hi_u32 s13, s4, -10
	s_sub_i32 s13, s13, s4
	s_mul_i32 s18, s5, -10
	s_mul_i32 s6, s4, -10
	s_add_i32 s13, s13, s18
	s_mul_hi_u32 s7, s5, s6
	s_mul_i32 s12, s5, s6
	s_mul_i32 s19, s4, s13
	s_mul_hi_u32 s6, s4, s6
	s_mul_hi_u32 s18, s4, s13
	s_add_u32 s6, s6, s19
	s_addc_u32 s18, 0, s18
	s_add_u32 s6, s6, s12
	s_mul_hi_u32 s19, s5, s13
	s_addc_u32 s6, s18, s7
	s_addc_u32 s7, s19, 0
	s_mul_i32 s12, s5, s13
	s_add_u32 s6, s6, s12
	v_mov_b32_e32 v4, s6
	s_addc_u32 s7, 0, s7
	v_add_co_u32_e32 v5, vcc, s4, v4
	s_cmp_lg_u64 vcc, 0
	v_mov_b32_e32 v3, s33
	s_addc_u32 s6, s5, s7
	v_add_co_u32_e32 v7, vcc, s48, v1
	v_addc_co_u32_e32 v8, vcc, 0, v3, vcc
	v_mad_u64_u32 v[3:4], s[4:5], v7, s6, 0
	v_mul_hi_u32 v1, v7, v5
	v_lshlrev_b32_e32 v22, 3, v2
	s_barrier
	v_add_co_u32_e32 v1, vcc, v1, v3
	v_addc_co_u32_e32 v9, vcc, 0, v4, vcc
	v_mad_u64_u32 v[3:4], s[4:5], v8, v5, 0
	v_mad_u64_u32 v[5:6], s[4:5], v8, s6, 0
	v_add_co_u32_e32 v1, vcc, v1, v3
	v_addc_co_u32_e32 v1, vcc, v9, v4, vcc
	v_addc_co_u32_e32 v3, vcc, 0, v6, vcc
	v_add_co_u32_e32 v1, vcc, v1, v5
	v_addc_co_u32_e32 v5, vcc, 0, v3, vcc
	v_mad_u64_u32 v[3:4], s[4:5], v1, 10, 0
	s_mov_b32 s7, 0x3f737871
	v_mov_b32_e32 v1, v4
	v_mad_u64_u32 v[4:5], s[4:5], v5, 10, v[1:2]
	v_sub_co_u32_e32 v1, vcc, v7, v3
	v_subb_co_u32_e32 v3, vcc, v8, v4, vcc
	v_subrev_co_u32_e32 v4, vcc, 10, v1
	v_subbrev_co_u32_e32 v5, vcc, 0, v3, vcc
	v_cmp_lt_u32_e32 vcc, 9, v4
	v_cndmask_b32_e64 v6, 0, -1, vcc
	v_cmp_eq_u32_e32 vcc, 0, v5
	v_cndmask_b32_e32 v5, -1, v6, vcc
	v_add_u32_e32 v6, -10, v4
	v_cmp_ne_u32_e32 vcc, 0, v5
	v_cndmask_b32_e32 v4, v4, v6, vcc
	v_cmp_lt_u32_e32 vcc, 9, v1
	v_cndmask_b32_e64 v5, 0, -1, vcc
	v_cmp_eq_u32_e32 vcc, 0, v3
	v_cndmask_b32_e32 v3, -1, v5, vcc
	v_cmp_ne_u32_e32 vcc, 0, v3
	v_cndmask_b32_e32 v1, v1, v4, vcc
	v_mul_u32_u24_e32 v1, 0x64, v1
	v_lshlrev_b32_e32 v21, 3, v1
	v_add3_u32 v1, 0, v22, v21
	ds_read2_b64 v[3:6], v1 offset0:10 offset1:20
	ds_read2_b64 v[7:10], v1 offset0:50 offset1:60
	;; [unrolled: 1-line block ×4, first 2 shown]
	ds_read_b64 v[19:20], v1 offset:720
	v_add3_u32 v28, 0, v21, v22
	ds_read_b64 v[21:22], v28
	s_waitcnt lgkmcnt(3)
	v_add_f32_e32 v23, v7, v11
	v_fma_f32 v23, -0.5, v23, v3
	s_waitcnt lgkmcnt(1)
	v_add_f32_e32 v24, v15, v19
	v_fma_f32 v24, -0.5, v24, v3
	s_waitcnt lgkmcnt(0)
	v_add_f32_e32 v27, v21, v5
	v_add_f32_e32 v3, v3, v15
	;; [unrolled: 1-line block ×4, first 2 shown]
	v_sub_f32_e32 v30, v5, v17
	v_add_f32_e32 v36, v17, v9
	v_add_f32_e32 v27, v27, v9
	v_sub_f32_e32 v42, v13, v9
	v_add_f32_e32 v3, v3, v11
	v_add_f32_e32 v31, v5, v13
	v_sub_f32_e32 v32, v17, v5
	v_sub_f32_e32 v5, v5, v13
	;; [unrolled: 1-line block ×8, first 2 shown]
	v_add_f32_e32 v13, v27, v13
	v_sub_f32_e32 v27, v19, v11
	v_sub_f32_e32 v11, v11, v19
	v_add_f32_e32 v19, v3, v19
	v_add_f32_e32 v3, v30, v42
	v_fma_f32 v30, -0.5, v36, v21
	v_sub_f32_e32 v29, v6, v14
	v_mov_b32_e32 v36, v30
	v_sub_f32_e32 v37, v18, v10
	v_fmac_f32_e32 v36, 0x3f737871, v29
	v_fmac_f32_e32 v30, 0xbf737871, v29
	;; [unrolled: 1-line block ×6, first 2 shown]
	v_add_f32_e32 v3, v32, v9
	v_fma_f32 v9, -0.5, v31, v21
	v_add_f32_e32 v33, v22, v6
	v_mov_b32_e32 v21, v9
	v_add_f32_e32 v25, v8, v12
	v_add_f32_e32 v26, v16, v20
	v_sub_f32_e32 v34, v6, v18
	v_add_f32_e32 v35, v6, v14
	v_sub_f32_e32 v6, v18, v6
	v_add_f32_e32 v33, v33, v18
	v_add_f32_e32 v18, v18, v10
	v_fmac_f32_e32 v21, 0xbf737871, v37
	v_fmac_f32_e32 v9, 0x3f737871, v37
	v_fma_f32 v25, -0.5, v25, v4
	v_fma_f32 v26, -0.5, v26, v4
	v_add_f32_e32 v4, v4, v16
	v_fmac_f32_e32 v21, 0x3f167918, v29
	v_fmac_f32_e32 v9, 0xbf167918, v29
	v_fma_f32 v29, -0.5, v18, v22
	v_add_f32_e32 v4, v4, v8
	v_mov_b32_e32 v18, v29
	v_fmac_f32_e32 v22, -0.5, v35
	v_add_f32_e32 v33, v33, v10
	v_sub_f32_e32 v43, v14, v10
	v_add_f32_e32 v4, v4, v12
	v_fmac_f32_e32 v18, 0xbf737871, v5
	v_fmac_f32_e32 v29, 0x3f737871, v5
	v_mov_b32_e32 v31, v22
	v_sub_f32_e32 v38, v16, v20
	v_sub_f32_e32 v41, v16, v8
	;; [unrolled: 1-line block ×5, first 2 shown]
	v_add_f32_e32 v14, v33, v14
	v_sub_f32_e32 v33, v20, v12
	v_sub_f32_e32 v12, v12, v20
	v_add_f32_e32 v20, v4, v20
	v_fmac_f32_e32 v21, 0x3e9e377a, v3
	v_fmac_f32_e32 v9, 0x3e9e377a, v3
	v_add_f32_e32 v3, v34, v43
	v_fmac_f32_e32 v18, 0xbf167918, v17
	v_fmac_f32_e32 v29, 0x3f167918, v17
	v_fmac_f32_e32 v31, 0x3f737871, v17
	v_fmac_f32_e32 v22, 0xbf737871, v17
	v_mov_b32_e32 v4, v23
	v_fmac_f32_e32 v18, 0x3e9e377a, v3
	v_fmac_f32_e32 v29, 0x3e9e377a, v3
	v_add_f32_e32 v3, v6, v10
	v_fmac_f32_e32 v31, 0xbf167918, v5
	v_fmac_f32_e32 v22, 0x3f167918, v5
	v_fmac_f32_e32 v4, 0x3f737871, v38
	v_fmac_f32_e32 v23, 0xbf737871, v38
	v_mov_b32_e32 v5, v24
	;; [unrolled: 8-line block ×4, first 2 shown]
	v_fmac_f32_e32 v5, 0x3e9e377a, v3
	v_fmac_f32_e32 v24, 0x3e9e377a, v3
	v_add_f32_e32 v3, v41, v33
	v_fmac_f32_e32 v6, 0xbf167918, v7
	v_fmac_f32_e32 v25, 0x3f167918, v7
	;; [unrolled: 1-line block ×6, first 2 shown]
	v_add_f32_e32 v3, v16, v12
	v_fmac_f32_e32 v8, 0xbf167918, v15
	v_fmac_f32_e32 v26, 0x3f167918, v15
	;; [unrolled: 1-line block ×4, first 2 shown]
	v_mul_f32_e32 v3, 0x3e9e377a, v24
	s_mov_b32 s5, 0x3f167918
	v_mul_f32_e32 v27, 0x3f737871, v8
	v_fma_f32 v10, v26, s7, -v3
	v_mul_f32_e32 v3, 0x3f4f1bbd, v23
	s_mov_b32 s6, 0xbf737871
	s_mov_b32 s4, 0xbf167918
	v_mul_f32_e32 v15, 0x3f4f1bbd, v4
	v_fmac_f32_e32 v27, 0x3e9e377a, v5
	v_mul_f32_e32 v16, 0xbf167918, v4
	v_fma_f32 v32, v25, s5, -v3
	v_mul_f32_e32 v33, 0xbf737871, v5
	v_mul_f32_e32 v3, 0x3e9e377a, v26
	;; [unrolled: 1-line block ×3, first 2 shown]
	v_fmac_f32_e32 v15, 0x3f167918, v6
	v_fmac_f32_e32 v16, 0x3f4f1bbd, v6
	v_fma_f32 v3, v24, s6, -v3
	v_fma_f32 v23, v23, s4, -v5
	s_movk_i32 s12, 0x48
	v_fmac_f32_e32 v33, 0x3e9e377a, v8
	v_add_f32_e32 v4, v22, v3
	v_sub_f32_e32 v6, v22, v3
	v_add_f32_e32 v7, v13, v19
	v_add_f32_e32 v3, v9, v10
	v_sub_f32_e32 v5, v9, v10
	v_add_f32_e32 v9, v36, v15
	v_add_f32_e32 v8, v14, v20
	;; [unrolled: 1-line block ×3, first 2 shown]
	v_sub_f32_e32 v16, v18, v16
	v_add_f32_e32 v18, v29, v23
	v_sub_f32_e32 v22, v29, v23
	v_mad_u32_u24 v23, v2, s12, v1
	v_mul_u32_u24_e32 v2, 9, v2
	v_sub_f32_e32 v11, v13, v19
	v_sub_f32_e32 v12, v14, v20
	v_add_f32_e32 v13, v21, v27
	v_sub_f32_e32 v15, v36, v15
	v_add_f32_e32 v17, v30, v32
	v_add_f32_e32 v14, v31, v33
	v_sub_f32_e32 v19, v21, v27
	v_sub_f32_e32 v21, v30, v32
	;; [unrolled: 1-line block ×3, first 2 shown]
	s_barrier
	ds_write2_b64 v23, v[7:8], v[9:10] offset1:1
	ds_write2_b64 v23, v[13:14], v[3:4] offset0:2 offset1:3
	ds_write2_b64 v23, v[17:18], v[11:12] offset0:4 offset1:5
	;; [unrolled: 1-line block ×4, first 2 shown]
	v_lshlrev_b32_e32 v18, 3, v2
	s_waitcnt lgkmcnt(0)
	s_barrier
	global_load_dwordx4 v[2:5], v18, s[16:17]
	global_load_dwordx4 v[6:9], v18, s[16:17] offset:16
	global_load_dwordx4 v[10:13], v18, s[16:17] offset:32
	;; [unrolled: 1-line block ×3, first 2 shown]
	global_load_dwordx2 v[26:27], v18, s[16:17] offset:64
	ds_read2_b64 v[18:21], v1 offset0:10 offset1:20
	s_andn2_b64 vcc, exec, s[0:1]
	s_mov_b64 s[0:1], -1
	s_waitcnt vmcnt(4) lgkmcnt(0)
	v_mul_f32_e32 v22, v3, v19
	v_fma_f32 v29, v2, v18, -v22
	ds_read2_b64 v[22:25], v1 offset0:30 offset1:40
	v_mul_f32_e32 v18, v3, v18
	v_fmac_f32_e32 v18, v2, v19
	v_mul_f32_e32 v2, v5, v21
	v_fma_f32 v19, v4, v20, -v2
	v_mul_f32_e32 v20, v5, v20
	s_waitcnt vmcnt(3) lgkmcnt(0)
	v_mul_f32_e32 v2, v7, v23
	v_fmac_f32_e32 v20, v4, v21
	v_fma_f32 v21, v6, v22, -v2
	ds_read2_b64 v[2:5], v1 offset0:50 offset1:60
	v_mul_f32_e32 v22, v7, v22
	v_fmac_f32_e32 v22, v6, v23
	v_mul_f32_e32 v6, v9, v25
	v_fma_f32 v23, v8, v24, -v6
	v_mul_f32_e32 v24, v9, v24
	s_waitcnt vmcnt(2) lgkmcnt(0)
	v_mul_f32_e32 v6, v11, v3
	v_fmac_f32_e32 v24, v8, v25
	v_fma_f32 v25, v10, v2, -v6
	ds_read2_b64 v[6:9], v1 offset0:70 offset1:80
	v_mul_f32_e32 v11, v11, v2
	v_mul_f32_e32 v2, v5, v13
	v_fmac_f32_e32 v11, v10, v3
	v_fma_f32 v10, v4, v12, -v2
	v_mul_f32_e32 v13, v4, v13
	s_waitcnt vmcnt(1) lgkmcnt(0)
	v_mul_f32_e32 v2, v7, v15
	v_fmac_f32_e32 v13, v5, v12
	v_fma_f32 v12, v6, v14, -v2
	ds_read_b64 v[2:3], v1 offset:720
	v_mul_f32_e32 v6, v6, v15
	v_mul_f32_e32 v4, v9, v17
	v_fmac_f32_e32 v6, v7, v14
	v_fma_f32 v7, v8, v16, -v4
	ds_read_b64 v[4:5], v28
	v_mul_f32_e32 v8, v8, v17
	v_fmac_f32_e32 v8, v9, v16
	s_waitcnt vmcnt(0) lgkmcnt(1)
	v_mul_f32_e32 v9, v3, v27
	v_fma_f32 v9, v2, v26, -v9
	v_mul_f32_e32 v2, v2, v27
	v_fmac_f32_e32 v2, v3, v26
	v_add_f32_e32 v3, v23, v10
	s_waitcnt lgkmcnt(0)
	v_fma_f32 v26, -0.5, v3, v4
	v_sub_f32_e32 v3, v20, v8
	v_mov_b32_e32 v14, v26
	v_fmac_f32_e32 v14, 0x3f737871, v3
	v_sub_f32_e32 v15, v24, v13
	v_sub_f32_e32 v16, v19, v23
	v_sub_f32_e32 v17, v7, v10
	v_fmac_f32_e32 v26, 0xbf737871, v3
	v_fmac_f32_e32 v14, 0x3f167918, v15
	v_add_f32_e32 v16, v16, v17
	v_fmac_f32_e32 v26, 0xbf167918, v15
	v_fmac_f32_e32 v14, 0x3e9e377a, v16
	;; [unrolled: 1-line block ×3, first 2 shown]
	v_sub_f32_e32 v16, v23, v19
	v_sub_f32_e32 v17, v10, v7
	v_add_f32_e32 v16, v16, v17
	v_add_f32_e32 v17, v19, v7
	v_fma_f32 v27, -0.5, v17, v4
	v_mov_b32_e32 v17, v27
	v_fmac_f32_e32 v17, 0xbf737871, v15
	v_fmac_f32_e32 v27, 0x3f737871, v15
	;; [unrolled: 1-line block ×4, first 2 shown]
	v_add_f32_e32 v3, v4, v19
	v_add_f32_e32 v3, v3, v23
	;; [unrolled: 1-line block ×5, first 2 shown]
	v_fma_f32 v28, -0.5, v3, v5
	v_sub_f32_e32 v3, v19, v7
	v_sub_f32_e32 v7, v23, v10
	;; [unrolled: 1-line block ×4, first 2 shown]
	v_add_f32_e32 v10, v10, v15
	v_mov_b32_e32 v15, v28
	v_fmac_f32_e32 v15, 0xbf737871, v3
	v_fmac_f32_e32 v28, 0x3f737871, v3
	;; [unrolled: 1-line block ×6, first 2 shown]
	v_add_f32_e32 v16, v20, v8
	v_fmac_f32_e32 v15, 0x3e9e377a, v10
	v_fmac_f32_e32 v28, 0x3e9e377a, v10
	v_add_f32_e32 v10, v5, v20
	v_fmac_f32_e32 v5, -0.5, v16
	v_add_f32_e32 v10, v10, v24
	v_mov_b32_e32 v19, v5
	v_add_f32_e32 v10, v10, v13
	v_fmac_f32_e32 v19, 0x3f737871, v7
	v_fmac_f32_e32 v5, 0xbf737871, v7
	v_add_f32_e32 v10, v10, v8
	v_sub_f32_e32 v16, v24, v20
	v_fmac_f32_e32 v19, 0xbf167918, v3
	v_sub_f32_e32 v8, v13, v8
	v_fmac_f32_e32 v5, 0x3f167918, v3
	v_add_f32_e32 v3, v25, v12
	v_add_f32_e32 v8, v16, v8
	v_fma_f32 v20, -0.5, v3, v29
	v_fmac_f32_e32 v19, 0x3e9e377a, v8
	v_fmac_f32_e32 v5, 0x3e9e377a, v8
	v_sub_f32_e32 v3, v22, v2
	v_mov_b32_e32 v7, v20
	v_sub_f32_e32 v8, v21, v25
	v_sub_f32_e32 v13, v9, v12
	v_fmac_f32_e32 v7, 0x3f737871, v3
	v_add_f32_e32 v8, v8, v13
	v_sub_f32_e32 v13, v11, v6
	v_fmac_f32_e32 v20, 0xbf737871, v3
	v_fmac_f32_e32 v7, 0x3f167918, v13
	;; [unrolled: 1-line block ×3, first 2 shown]
	v_add_f32_e32 v16, v21, v9
	v_fmac_f32_e32 v7, 0x3e9e377a, v8
	v_fmac_f32_e32 v20, 0x3e9e377a, v8
	v_add_f32_e32 v8, v29, v21
	v_fmac_f32_e32 v29, -0.5, v16
	v_sub_f32_e32 v16, v25, v21
	v_sub_f32_e32 v23, v12, v9
	v_add_f32_e32 v16, v16, v23
	v_mov_b32_e32 v23, v29
	v_fmac_f32_e32 v23, 0xbf737871, v13
	v_fmac_f32_e32 v29, 0x3f737871, v13
	;; [unrolled: 1-line block ×4, first 2 shown]
	v_add_f32_e32 v3, v8, v25
	v_add_f32_e32 v3, v3, v12
	;; [unrolled: 1-line block ×4, first 2 shown]
	v_fma_f32 v24, -0.5, v3, v18
	v_sub_f32_e32 v3, v21, v9
	v_sub_f32_e32 v9, v25, v12
	;; [unrolled: 1-line block ×4, first 2 shown]
	v_add_f32_e32 v12, v12, v13
	v_mov_b32_e32 v13, v24
	v_fmac_f32_e32 v13, 0xbf737871, v3
	v_fmac_f32_e32 v24, 0x3f737871, v3
	;; [unrolled: 1-line block ×8, first 2 shown]
	v_add_f32_e32 v12, v18, v22
	v_add_f32_e32 v16, v22, v2
	v_fmac_f32_e32 v18, -0.5, v16
	v_add_f32_e32 v12, v12, v11
	v_add_f32_e32 v12, v12, v6
	v_mov_b32_e32 v16, v18
	v_add_f32_e32 v12, v12, v2
	v_sub_f32_e32 v11, v11, v22
	v_fmac_f32_e32 v16, 0x3f737871, v9
	v_sub_f32_e32 v2, v6, v2
	v_fmac_f32_e32 v18, 0xbf737871, v9
	v_fmac_f32_e32 v16, 0xbf167918, v3
	v_add_f32_e32 v2, v11, v2
	v_fmac_f32_e32 v18, 0x3f167918, v3
	v_mul_f32_e32 v11, 0x3f167918, v13
	v_fmac_f32_e32 v16, 0x3e9e377a, v2
	v_fmac_f32_e32 v18, 0x3e9e377a, v2
	;; [unrolled: 1-line block ×3, first 2 shown]
	v_mul_f32_e32 v21, 0xbf167918, v7
	v_add_f32_e32 v2, v4, v8
	v_add_f32_e32 v6, v14, v11
	v_fmac_f32_e32 v21, 0x3f4f1bbd, v13
	v_mul_f32_e32 v22, 0x3f737871, v16
	v_add_f32_e32 v3, v10, v12
	v_sub_f32_e32 v8, v4, v8
	v_sub_f32_e32 v9, v10, v12
	v_mul_f32_e32 v4, 0xbf737871, v23
	v_mul_f32_e32 v7, 0x3e9e377a, v29
	v_sub_f32_e32 v12, v14, v11
	v_mul_f32_e32 v11, 0x3e9e377a, v18
	v_fmac_f32_e32 v22, 0x3e9e377a, v23
	v_fmac_f32_e32 v4, 0x3e9e377a, v16
	v_fma_f32 v23, v18, s7, -v7
	v_add_f32_e32 v7, v15, v21
	v_sub_f32_e32 v13, v15, v21
	v_fma_f32 v21, v29, s6, -v11
	v_mul_f32_e32 v11, 0x3f4f1bbd, v20
	v_add_f32_e32 v10, v17, v22
	v_fma_f32 v25, v24, s5, -v11
	v_add_f32_e32 v11, v19, v4
	v_sub_f32_e32 v16, v17, v22
	v_sub_f32_e32 v17, v19, v4
	v_mul_f32_e32 v4, 0x3f4f1bbd, v24
	v_fma_f32 v22, v20, s4, -v4
	s_movk_i32 s4, 0x290
	v_add_f32_e32 v14, v27, v23
	v_add_f32_e32 v18, v26, v25
	;; [unrolled: 1-line block ×4, first 2 shown]
	v_sub_f32_e32 v4, v27, v23
	v_sub_f32_e32 v20, v26, v25
	;; [unrolled: 1-line block ×4, first 2 shown]
	s_barrier
	ds_write2_b64 v1, v[2:3], v[6:7] offset1:10
	ds_write2_b64 v1, v[10:11], v[14:15] offset0:20 offset1:30
	ds_write2_b64 v1, v[18:19], v[8:9] offset0:40 offset1:50
	;; [unrolled: 1-line block ×4, first 2 shown]
	v_mul_u32_u24_sdwa v1, v0, s4 dst_sel:DWORD dst_unused:UNUSED_PAD src0_sel:WORD_0 src1_sel:DWORD
	v_lshrrev_b32_e32 v2, 16, v1
	v_mul_lo_u16_e32 v1, 0x64, v2
	v_sub_u16_e32 v3, v0, v1
	s_waitcnt lgkmcnt(0)
	s_barrier
	s_cbranch_vccz .LBB0_17
; %bb.15:
	s_andn2_b64 vcc, exec, s[0:1]
	s_cbranch_vccz .LBB0_21
.LBB0_16:
	s_endpgm
.LBB0_17:
	v_mov_b32_e32 v1, s33
	v_add_co_u32_e32 v0, vcc, s48, v2
	v_addc_co_u32_e32 v1, vcc, 0, v1, vcc
	v_cmp_gt_u64_e32 vcc, s[28:29], v[0:1]
	s_and_saveexec_b64 s[0:1], vcc
	s_cbranch_execz .LBB0_20
; %bb.18:
	v_mad_u64_u32 v[4:5], s[4:5], s8, v3, 0
                                        ; kill: def $vgpr6 killed $sgpr0 killed $exec
	v_lshlrev_b32_e32 v7, 3, v3
	s_mov_b32 s6, 0
	v_mad_u64_u32 v[5:6], s[4:5], s9, v3, v[5:6]
	s_lshl_b64 s[4:5], s[2:3], 3
	s_add_u32 s4, s14, s4
	v_lshlrev_b64 v[4:5], 3, v[4:5]
	s_addc_u32 s5, s15, s5
	v_mov_b32_e32 v6, s5
	v_add_co_u32_e32 v4, vcc, s4, v4
	v_addc_co_u32_e32 v5, vcc, v6, v5, vcc
	v_mul_u32_u24_e32 v6, 0x320, v2
	v_add3_u32 v6, v6, v7, 0
	s_mov_b64 s[4:5], 0
.LBB0_19:                               ; =>This Inner Loop Header: Depth=1
	v_add_u32_e32 v13, s6, v2
	v_mad_u64_u32 v[9:10], s[12:13], s10, v13, 0
	s_add_i32 s6, s6, 1
	v_add_co_u32_e32 v11, vcc, s6, v0
	v_addc_co_u32_e32 v12, vcc, 0, v1, vcc
	v_cmp_le_u64_e32 vcc, s[28:29], v[11:12]
	v_mad_u64_u32 v[10:11], s[12:13], s11, v13, v[10:11]
	ds_read_b64 v[7:8], v6
	s_or_b64 s[4:5], vcc, s[4:5]
	v_lshlrev_b64 v[9:10], 3, v[9:10]
	v_add_u32_e32 v6, 0x320, v6
	v_add_co_u32_e32 v9, vcc, v4, v9
	v_addc_co_u32_e32 v10, vcc, v5, v10, vcc
	s_waitcnt lgkmcnt(0)
	global_store_dwordx2 v[9:10], v[7:8], off
	s_andn2_b64 exec, exec, s[4:5]
	s_cbranch_execnz .LBB0_19
.LBB0_20:
	s_or_b64 exec, exec, s[0:1]
	s_cbranch_execnz .LBB0_16
.LBB0_21:
	v_mad_u64_u32 v[0:1], s[0:1], s8, v3, 0
	v_mul_lo_u32 v8, s11, v2
	v_mul_lo_u32 v7, s10, v2
	v_mad_u64_u32 v[4:5], s[0:1], s9, v3, v[1:2]
	s_lshl_b64 s[0:1], s[2:3], 3
	s_add_u32 s0, s14, s0
	v_mov_b32_e32 v1, v4
	v_lshlrev_b64 v[0:1], 3, v[0:1]
	v_mul_u32_u24_e32 v5, 0x320, v2
	v_lshlrev_b32_e32 v3, 3, v3
	s_addc_u32 s1, s15, s1
	v_add3_u32 v11, 0, v5, v3
	v_mov_b32_e32 v9, s1
	v_add_co_u32_e32 v12, vcc, s0, v0
	ds_read2_b64 v[3:6], v11 offset1:100
	v_addc_co_u32_e32 v13, vcc, v9, v1, vcc
	v_add_u32_e32 v9, 1, v2
	v_lshlrev_b64 v[0:1], 3, v[7:8]
	v_mad_u64_u32 v[7:8], s[0:1], s10, v9, 0
	v_add_co_u32_e32 v0, vcc, v12, v0
	v_addc_co_u32_e32 v1, vcc, v13, v1, vcc
	s_waitcnt lgkmcnt(0)
	global_store_dwordx2 v[0:1], v[3:4], off
	v_mov_b32_e32 v0, v8
	v_or_b32_e32 v4, 2, v2
	v_mad_u64_u32 v[0:1], s[0:1], s11, v9, v[0:1]
	v_mad_u64_u32 v[9:10], s[0:1], s10, v4, 0
	v_mov_b32_e32 v8, v0
	v_lshlrev_b64 v[0:1], 3, v[7:8]
	v_mov_b32_e32 v3, v10
	v_mad_u64_u32 v[3:4], s[0:1], s11, v4, v[3:4]
	v_add_co_u32_e32 v0, vcc, v12, v0
	v_addc_co_u32_e32 v1, vcc, v13, v1, vcc
	global_store_dwordx2 v[0:1], v[5:6], off
	v_mov_b32_e32 v10, v3
	v_add_u32_e32 v0, 0x400, v11
	ds_read2_b64 v[3:6], v0 offset0:72 offset1:172
	v_lshlrev_b64 v[0:1], 3, v[9:10]
	v_add_u32_e32 v9, 3, v2
	v_mad_u64_u32 v[7:8], s[0:1], s10, v9, 0
	v_add_co_u32_e32 v0, vcc, v12, v0
	v_addc_co_u32_e32 v1, vcc, v13, v1, vcc
	s_waitcnt lgkmcnt(0)
	global_store_dwordx2 v[0:1], v[3:4], off
	v_mov_b32_e32 v0, v8
	v_mad_u64_u32 v[0:1], s[0:1], s11, v9, v[0:1]
	v_or_b32_e32 v9, 4, v2
	v_mad_u64_u32 v[3:4], s[0:1], s10, v9, 0
	v_mov_b32_e32 v8, v0
	v_lshlrev_b64 v[0:1], 3, v[7:8]
	v_mad_u64_u32 v[7:8], s[0:1], s11, v9, v[4:5]
	v_add_co_u32_e32 v0, vcc, v12, v0
	v_addc_co_u32_e32 v1, vcc, v13, v1, vcc
	v_mov_b32_e32 v4, v7
	v_add_u32_e32 v7, 0xc00, v11
	global_store_dwordx2 v[0:1], v[5:6], off
	ds_read2_b32 v[0:1], v7 offset0:32 offset1:33
	v_add_u32_e32 v9, 5, v2
	v_lshlrev_b64 v[3:4], 3, v[3:4]
	v_mad_u64_u32 v[5:6], s[0:1], s10, v9, 0
	v_add_co_u32_e32 v3, vcc, v12, v3
	v_addc_co_u32_e32 v4, vcc, v13, v4, vcc
	s_waitcnt lgkmcnt(0)
	global_store_dwordx2 v[3:4], v[0:1], off
	v_mov_b32_e32 v0, v6
	v_mad_u64_u32 v[0:1], s[0:1], s11, v9, v[0:1]
	ds_read2_b32 v[7:8], v7 offset0:232 offset1:233
	v_or_b32_e32 v9, 6, v2
	v_mov_b32_e32 v6, v0
	v_mad_u64_u32 v[3:4], s[0:1], s10, v9, 0
	v_lshlrev_b64 v[0:1], 3, v[5:6]
	v_add_co_u32_e32 v0, vcc, v12, v0
	v_addc_co_u32_e32 v1, vcc, v13, v1, vcc
	v_mad_u64_u32 v[4:5], s[0:1], s11, v9, v[4:5]
	s_waitcnt lgkmcnt(0)
	global_store_dwordx2 v[0:1], v[7:8], off
	v_add_u32_e32 v7, 7, v2
	v_mad_u64_u32 v[0:1], s[0:1], s10, v7, 0
	v_add_u32_e32 v5, 0x1000, v11
	ds_read2_b32 v[5:6], v5 offset0:176 offset1:177
	v_lshlrev_b64 v[3:4], 3, v[3:4]
	v_mad_u64_u32 v[7:8], s[0:1], s11, v7, v[1:2]
	v_add_co_u32_e32 v3, vcc, v12, v3
	v_addc_co_u32_e32 v4, vcc, v13, v4, vcc
	s_waitcnt lgkmcnt(0)
	global_store_dwordx2 v[3:4], v[5:6], off
	v_add_u32_e32 v5, 0x1400, v11
	v_mov_b32_e32 v1, v7
	v_or_b32_e32 v7, 8, v2
	ds_read2_b32 v[5:6], v5 offset0:120 offset1:121
	v_mad_u64_u32 v[3:4], s[0:1], s10, v7, 0
	v_lshlrev_b64 v[0:1], 3, v[0:1]
	s_waitcnt lgkmcnt(0)
	v_mad_u64_u32 v[7:8], s[0:1], s11, v7, v[4:5]
	v_add_co_u32_e32 v0, vcc, v12, v0
	v_addc_co_u32_e32 v1, vcc, v13, v1, vcc
	v_mov_b32_e32 v4, v7
	v_add_u32_e32 v7, 9, v2
	global_store_dwordx2 v[0:1], v[5:6], off
	v_mad_u64_u32 v[0:1], s[0:1], s10, v7, 0
	v_add_u32_e32 v2, 0x1800, v11
	ds_read2_b32 v[5:6], v2 offset0:64 offset1:65
	v_lshlrev_b64 v[2:3], 3, v[3:4]
	v_mad_u64_u32 v[7:8], s[0:1], s11, v7, v[1:2]
	v_add_co_u32_e32 v1, vcc, v12, v2
	v_addc_co_u32_e32 v2, vcc, v13, v3, vcc
	s_waitcnt lgkmcnt(0)
	global_store_dwordx2 v[1:2], v[5:6], off
	v_add_u32_e32 v2, 0x1c00, v11
	v_mov_b32_e32 v1, v7
	ds_read2_b32 v[2:3], v2 offset0:8 offset1:9
	v_lshlrev_b64 v[0:1], 3, v[0:1]
	v_add_co_u32_e32 v0, vcc, v12, v0
	v_addc_co_u32_e32 v1, vcc, v13, v1, vcc
	s_waitcnt lgkmcnt(0)
	global_store_dwordx2 v[0:1], v[2:3], off
	s_endpgm
	.section	.rodata,"a",@progbits
	.p2align	6, 0x0
	.amdhsa_kernel fft_rtc_fwd_len100_factors_10_10_wgs_100_tpt_10_sp_op_CI_CI_sbcr
		.amdhsa_group_segment_fixed_size 0
		.amdhsa_private_segment_fixed_size 0
		.amdhsa_kernarg_size 104
		.amdhsa_user_sgpr_count 6
		.amdhsa_user_sgpr_private_segment_buffer 1
		.amdhsa_user_sgpr_dispatch_ptr 0
		.amdhsa_user_sgpr_queue_ptr 0
		.amdhsa_user_sgpr_kernarg_segment_ptr 1
		.amdhsa_user_sgpr_dispatch_id 0
		.amdhsa_user_sgpr_flat_scratch_init 0
		.amdhsa_user_sgpr_private_segment_size 0
		.amdhsa_uses_dynamic_stack 0
		.amdhsa_system_sgpr_private_segment_wavefront_offset 0
		.amdhsa_system_sgpr_workgroup_id_x 1
		.amdhsa_system_sgpr_workgroup_id_y 0
		.amdhsa_system_sgpr_workgroup_id_z 0
		.amdhsa_system_sgpr_workgroup_info 0
		.amdhsa_system_vgpr_workitem_id 0
		.amdhsa_next_free_vgpr 44
		.amdhsa_next_free_sgpr 55
		.amdhsa_reserve_vcc 1
		.amdhsa_reserve_flat_scratch 0
		.amdhsa_float_round_mode_32 0
		.amdhsa_float_round_mode_16_64 0
		.amdhsa_float_denorm_mode_32 3
		.amdhsa_float_denorm_mode_16_64 3
		.amdhsa_dx10_clamp 1
		.amdhsa_ieee_mode 1
		.amdhsa_fp16_overflow 0
		.amdhsa_exception_fp_ieee_invalid_op 0
		.amdhsa_exception_fp_denorm_src 0
		.amdhsa_exception_fp_ieee_div_zero 0
		.amdhsa_exception_fp_ieee_overflow 0
		.amdhsa_exception_fp_ieee_underflow 0
		.amdhsa_exception_fp_ieee_inexact 0
		.amdhsa_exception_int_div_zero 0
	.end_amdhsa_kernel
	.text
.Lfunc_end0:
	.size	fft_rtc_fwd_len100_factors_10_10_wgs_100_tpt_10_sp_op_CI_CI_sbcr, .Lfunc_end0-fft_rtc_fwd_len100_factors_10_10_wgs_100_tpt_10_sp_op_CI_CI_sbcr
                                        ; -- End function
	.section	.AMDGPU.csdata,"",@progbits
; Kernel info:
; codeLenInByte = 5968
; NumSgprs: 59
; NumVgprs: 44
; ScratchSize: 0
; MemoryBound: 0
; FloatMode: 240
; IeeeMode: 1
; LDSByteSize: 0 bytes/workgroup (compile time only)
; SGPRBlocks: 7
; VGPRBlocks: 10
; NumSGPRsForWavesPerEU: 59
; NumVGPRsForWavesPerEU: 44
; Occupancy: 5
; WaveLimiterHint : 1
; COMPUTE_PGM_RSRC2:SCRATCH_EN: 0
; COMPUTE_PGM_RSRC2:USER_SGPR: 6
; COMPUTE_PGM_RSRC2:TRAP_HANDLER: 0
; COMPUTE_PGM_RSRC2:TGID_X_EN: 1
; COMPUTE_PGM_RSRC2:TGID_Y_EN: 0
; COMPUTE_PGM_RSRC2:TGID_Z_EN: 0
; COMPUTE_PGM_RSRC2:TIDIG_COMP_CNT: 0
	.type	__hip_cuid_9283dbecf3ed760e,@object ; @__hip_cuid_9283dbecf3ed760e
	.section	.bss,"aw",@nobits
	.globl	__hip_cuid_9283dbecf3ed760e
__hip_cuid_9283dbecf3ed760e:
	.byte	0                               ; 0x0
	.size	__hip_cuid_9283dbecf3ed760e, 1

	.ident	"AMD clang version 19.0.0git (https://github.com/RadeonOpenCompute/llvm-project roc-6.4.0 25133 c7fe45cf4b819c5991fe208aaa96edf142730f1d)"
	.section	".note.GNU-stack","",@progbits
	.addrsig
	.addrsig_sym __hip_cuid_9283dbecf3ed760e
	.amdgpu_metadata
---
amdhsa.kernels:
  - .args:
      - .actual_access:  read_only
        .address_space:  global
        .offset:         0
        .size:           8
        .value_kind:     global_buffer
      - .offset:         8
        .size:           8
        .value_kind:     by_value
      - .actual_access:  read_only
        .address_space:  global
        .offset:         16
        .size:           8
        .value_kind:     global_buffer
      - .actual_access:  read_only
        .address_space:  global
        .offset:         24
        .size:           8
        .value_kind:     global_buffer
      - .actual_access:  read_only
        .address_space:  global
        .offset:         32
        .size:           8
        .value_kind:     global_buffer
      - .offset:         40
        .size:           8
        .value_kind:     by_value
      - .actual_access:  read_only
        .address_space:  global
        .offset:         48
        .size:           8
        .value_kind:     global_buffer
      - .actual_access:  read_only
        .address_space:  global
        .offset:         56
        .size:           8
        .value_kind:     global_buffer
      - .offset:         64
        .size:           4
        .value_kind:     by_value
      - .actual_access:  read_only
        .address_space:  global
        .offset:         72
        .size:           8
        .value_kind:     global_buffer
      - .actual_access:  read_only
        .address_space:  global
        .offset:         80
        .size:           8
        .value_kind:     global_buffer
      - .actual_access:  read_only
        .address_space:  global
        .offset:         88
        .size:           8
        .value_kind:     global_buffer
      - .actual_access:  write_only
        .address_space:  global
        .offset:         96
        .size:           8
        .value_kind:     global_buffer
    .group_segment_fixed_size: 0
    .kernarg_segment_align: 8
    .kernarg_segment_size: 104
    .language:       OpenCL C
    .language_version:
      - 2
      - 0
    .max_flat_workgroup_size: 100
    .name:           fft_rtc_fwd_len100_factors_10_10_wgs_100_tpt_10_sp_op_CI_CI_sbcr
    .private_segment_fixed_size: 0
    .sgpr_count:     59
    .sgpr_spill_count: 0
    .symbol:         fft_rtc_fwd_len100_factors_10_10_wgs_100_tpt_10_sp_op_CI_CI_sbcr.kd
    .uniform_work_group_size: 1
    .uses_dynamic_stack: false
    .vgpr_count:     44
    .vgpr_spill_count: 0
    .wavefront_size: 64
amdhsa.target:   amdgcn-amd-amdhsa--gfx906
amdhsa.version:
  - 1
  - 2
...

	.end_amdgpu_metadata
